;; amdgpu-corpus repo=ROCm/rocFFT kind=compiled arch=gfx1201 opt=O3
	.text
	.amdgcn_target "amdgcn-amd-amdhsa--gfx1201"
	.amdhsa_code_object_version 6
	.protected	fft_rtc_fwd_len1215_factors_5_3_3_3_3_3_wgs_243_tpt_243_halfLds_sp_ip_CI_sbrr_dirReg ; -- Begin function fft_rtc_fwd_len1215_factors_5_3_3_3_3_3_wgs_243_tpt_243_halfLds_sp_ip_CI_sbrr_dirReg
	.globl	fft_rtc_fwd_len1215_factors_5_3_3_3_3_3_wgs_243_tpt_243_halfLds_sp_ip_CI_sbrr_dirReg
	.p2align	8
	.type	fft_rtc_fwd_len1215_factors_5_3_3_3_3_3_wgs_243_tpt_243_halfLds_sp_ip_CI_sbrr_dirReg,@function
fft_rtc_fwd_len1215_factors_5_3_3_3_3_3_wgs_243_tpt_243_halfLds_sp_ip_CI_sbrr_dirReg: ; @fft_rtc_fwd_len1215_factors_5_3_3_3_3_3_wgs_243_tpt_243_halfLds_sp_ip_CI_sbrr_dirReg
; %bb.0:
	s_clause 0x2
	s_load_b64 s[12:13], s[0:1], 0x18
	s_load_b128 s[4:7], s[0:1], 0x0
	s_load_b64 s[10:11], s[0:1], 0x50
	v_mul_u32_u24_e32 v1, 0x10e, v0
	v_mov_b32_e32 v3, 0
	s_delay_alu instid0(VALU_DEP_2) | instskip(NEXT) | instid1(VALU_DEP_1)
	v_lshrrev_b32_e32 v1, 16, v1
	v_add_nc_u32_e32 v5, ttmp9, v1
	v_mov_b32_e32 v1, 0
	v_mov_b32_e32 v2, 0
	;; [unrolled: 1-line block ×3, first 2 shown]
	s_wait_kmcnt 0x0
	s_load_b64 s[8:9], s[12:13], 0x0
	v_cmp_lt_u64_e64 s2, s[6:7], 2
	s_delay_alu instid0(VALU_DEP_1)
	s_and_b32 vcc_lo, exec_lo, s2
	s_cbranch_vccnz .LBB0_8
; %bb.1:
	s_load_b64 s[2:3], s[0:1], 0x10
	v_mov_b32_e32 v1, 0
	v_mov_b32_e32 v2, 0
	s_add_nc_u64 s[14:15], s[12:13], 8
	s_mov_b64 s[16:17], 1
	s_wait_kmcnt 0x0
	s_add_nc_u64 s[18:19], s[2:3], 8
	s_mov_b32 s3, 0
.LBB0_2:                                ; =>This Inner Loop Header: Depth=1
	s_load_b64 s[20:21], s[18:19], 0x0
                                        ; implicit-def: $vgpr7_vgpr8
	s_mov_b32 s2, exec_lo
	s_wait_kmcnt 0x0
	v_or_b32_e32 v4, s21, v6
	s_delay_alu instid0(VALU_DEP_1)
	v_cmpx_ne_u64_e32 0, v[3:4]
	s_wait_alu 0xfffe
	s_xor_b32 s22, exec_lo, s2
	s_cbranch_execz .LBB0_4
; %bb.3:                                ;   in Loop: Header=BB0_2 Depth=1
	s_cvt_f32_u32 s2, s20
	s_cvt_f32_u32 s23, s21
	s_sub_nc_u64 s[26:27], 0, s[20:21]
	s_wait_alu 0xfffe
	s_delay_alu instid0(SALU_CYCLE_1) | instskip(SKIP_1) | instid1(SALU_CYCLE_2)
	s_fmamk_f32 s2, s23, 0x4f800000, s2
	s_wait_alu 0xfffe
	v_s_rcp_f32 s2, s2
	s_delay_alu instid0(TRANS32_DEP_1) | instskip(SKIP_1) | instid1(SALU_CYCLE_2)
	s_mul_f32 s2, s2, 0x5f7ffffc
	s_wait_alu 0xfffe
	s_mul_f32 s23, s2, 0x2f800000
	s_wait_alu 0xfffe
	s_delay_alu instid0(SALU_CYCLE_2) | instskip(SKIP_1) | instid1(SALU_CYCLE_2)
	s_trunc_f32 s23, s23
	s_wait_alu 0xfffe
	s_fmamk_f32 s2, s23, 0xcf800000, s2
	s_cvt_u32_f32 s25, s23
	s_wait_alu 0xfffe
	s_delay_alu instid0(SALU_CYCLE_1) | instskip(SKIP_1) | instid1(SALU_CYCLE_2)
	s_cvt_u32_f32 s24, s2
	s_wait_alu 0xfffe
	s_mul_u64 s[28:29], s[26:27], s[24:25]
	s_wait_alu 0xfffe
	s_mul_hi_u32 s31, s24, s29
	s_mul_i32 s30, s24, s29
	s_mul_hi_u32 s2, s24, s28
	s_mul_i32 s33, s25, s28
	s_wait_alu 0xfffe
	s_add_nc_u64 s[30:31], s[2:3], s[30:31]
	s_mul_hi_u32 s23, s25, s28
	s_mul_hi_u32 s34, s25, s29
	s_add_co_u32 s2, s30, s33
	s_wait_alu 0xfffe
	s_add_co_ci_u32 s2, s31, s23
	s_mul_i32 s28, s25, s29
	s_add_co_ci_u32 s29, s34, 0
	s_wait_alu 0xfffe
	s_add_nc_u64 s[28:29], s[2:3], s[28:29]
	s_wait_alu 0xfffe
	v_add_co_u32 v4, s2, s24, s28
	s_delay_alu instid0(VALU_DEP_1) | instskip(SKIP_1) | instid1(VALU_DEP_1)
	s_cmp_lg_u32 s2, 0
	s_add_co_ci_u32 s25, s25, s29
	v_readfirstlane_b32 s24, v4
	s_wait_alu 0xfffe
	s_delay_alu instid0(VALU_DEP_1)
	s_mul_u64 s[26:27], s[26:27], s[24:25]
	s_wait_alu 0xfffe
	s_mul_hi_u32 s29, s24, s27
	s_mul_i32 s28, s24, s27
	s_mul_hi_u32 s2, s24, s26
	s_mul_i32 s30, s25, s26
	s_wait_alu 0xfffe
	s_add_nc_u64 s[28:29], s[2:3], s[28:29]
	s_mul_hi_u32 s23, s25, s26
	s_mul_hi_u32 s24, s25, s27
	s_wait_alu 0xfffe
	s_add_co_u32 s2, s28, s30
	s_add_co_ci_u32 s2, s29, s23
	s_mul_i32 s26, s25, s27
	s_add_co_ci_u32 s27, s24, 0
	s_wait_alu 0xfffe
	s_add_nc_u64 s[26:27], s[2:3], s[26:27]
	s_wait_alu 0xfffe
	v_add_co_u32 v4, s2, v4, s26
	s_delay_alu instid0(VALU_DEP_1) | instskip(SKIP_1) | instid1(VALU_DEP_1)
	s_cmp_lg_u32 s2, 0
	s_add_co_ci_u32 s2, s25, s27
	v_mul_hi_u32 v13, v5, v4
	s_wait_alu 0xfffe
	v_mad_co_u64_u32 v[7:8], null, v5, s2, 0
	v_mad_co_u64_u32 v[9:10], null, v6, v4, 0
	;; [unrolled: 1-line block ×3, first 2 shown]
	s_delay_alu instid0(VALU_DEP_3) | instskip(SKIP_1) | instid1(VALU_DEP_4)
	v_add_co_u32 v4, vcc_lo, v13, v7
	s_wait_alu 0xfffd
	v_add_co_ci_u32_e32 v7, vcc_lo, 0, v8, vcc_lo
	s_delay_alu instid0(VALU_DEP_2) | instskip(SKIP_1) | instid1(VALU_DEP_2)
	v_add_co_u32 v4, vcc_lo, v4, v9
	s_wait_alu 0xfffd
	v_add_co_ci_u32_e32 v4, vcc_lo, v7, v10, vcc_lo
	s_wait_alu 0xfffd
	v_add_co_ci_u32_e32 v7, vcc_lo, 0, v12, vcc_lo
	s_delay_alu instid0(VALU_DEP_2) | instskip(SKIP_1) | instid1(VALU_DEP_2)
	v_add_co_u32 v4, vcc_lo, v4, v11
	s_wait_alu 0xfffd
	v_add_co_ci_u32_e32 v9, vcc_lo, 0, v7, vcc_lo
	s_delay_alu instid0(VALU_DEP_2) | instskip(SKIP_1) | instid1(VALU_DEP_3)
	v_mul_lo_u32 v10, s21, v4
	v_mad_co_u64_u32 v[7:8], null, s20, v4, 0
	v_mul_lo_u32 v11, s20, v9
	s_delay_alu instid0(VALU_DEP_2) | instskip(NEXT) | instid1(VALU_DEP_2)
	v_sub_co_u32 v7, vcc_lo, v5, v7
	v_add3_u32 v8, v8, v11, v10
	s_delay_alu instid0(VALU_DEP_1) | instskip(SKIP_1) | instid1(VALU_DEP_1)
	v_sub_nc_u32_e32 v10, v6, v8
	s_wait_alu 0xfffd
	v_subrev_co_ci_u32_e64 v10, s2, s21, v10, vcc_lo
	v_add_co_u32 v11, s2, v4, 2
	s_wait_alu 0xf1ff
	v_add_co_ci_u32_e64 v12, s2, 0, v9, s2
	v_sub_co_u32 v13, s2, v7, s20
	v_sub_co_ci_u32_e32 v8, vcc_lo, v6, v8, vcc_lo
	s_wait_alu 0xf1ff
	v_subrev_co_ci_u32_e64 v10, s2, 0, v10, s2
	s_delay_alu instid0(VALU_DEP_3) | instskip(NEXT) | instid1(VALU_DEP_3)
	v_cmp_le_u32_e32 vcc_lo, s20, v13
	v_cmp_eq_u32_e64 s2, s21, v8
	s_wait_alu 0xfffd
	v_cndmask_b32_e64 v13, 0, -1, vcc_lo
	v_cmp_le_u32_e32 vcc_lo, s21, v10
	s_wait_alu 0xfffd
	v_cndmask_b32_e64 v14, 0, -1, vcc_lo
	v_cmp_le_u32_e32 vcc_lo, s20, v7
	;; [unrolled: 3-line block ×3, first 2 shown]
	s_wait_alu 0xfffd
	v_cndmask_b32_e64 v15, 0, -1, vcc_lo
	v_cmp_eq_u32_e32 vcc_lo, s21, v10
	s_wait_alu 0xf1ff
	s_delay_alu instid0(VALU_DEP_2)
	v_cndmask_b32_e64 v7, v15, v7, s2
	s_wait_alu 0xfffd
	v_cndmask_b32_e32 v10, v14, v13, vcc_lo
	v_add_co_u32 v13, vcc_lo, v4, 1
	s_wait_alu 0xfffd
	v_add_co_ci_u32_e32 v14, vcc_lo, 0, v9, vcc_lo
	s_delay_alu instid0(VALU_DEP_3) | instskip(SKIP_2) | instid1(VALU_DEP_3)
	v_cmp_ne_u32_e32 vcc_lo, 0, v10
	s_wait_alu 0xfffd
	v_cndmask_b32_e32 v10, v13, v11, vcc_lo
	v_cndmask_b32_e32 v8, v14, v12, vcc_lo
	v_cmp_ne_u32_e32 vcc_lo, 0, v7
	s_wait_alu 0xfffd
	s_delay_alu instid0(VALU_DEP_2)
	v_dual_cndmask_b32 v7, v4, v10 :: v_dual_cndmask_b32 v8, v9, v8
.LBB0_4:                                ;   in Loop: Header=BB0_2 Depth=1
	s_wait_alu 0xfffe
	s_and_not1_saveexec_b32 s2, s22
	s_cbranch_execz .LBB0_6
; %bb.5:                                ;   in Loop: Header=BB0_2 Depth=1
	v_cvt_f32_u32_e32 v4, s20
	s_sub_co_i32 s22, 0, s20
	s_delay_alu instid0(VALU_DEP_1) | instskip(NEXT) | instid1(TRANS32_DEP_1)
	v_rcp_iflag_f32_e32 v4, v4
	v_mul_f32_e32 v4, 0x4f7ffffe, v4
	s_delay_alu instid0(VALU_DEP_1) | instskip(SKIP_1) | instid1(VALU_DEP_1)
	v_cvt_u32_f32_e32 v4, v4
	s_wait_alu 0xfffe
	v_mul_lo_u32 v7, s22, v4
	s_delay_alu instid0(VALU_DEP_1) | instskip(NEXT) | instid1(VALU_DEP_1)
	v_mul_hi_u32 v7, v4, v7
	v_add_nc_u32_e32 v4, v4, v7
	s_delay_alu instid0(VALU_DEP_1) | instskip(NEXT) | instid1(VALU_DEP_1)
	v_mul_hi_u32 v4, v5, v4
	v_mul_lo_u32 v7, v4, s20
	v_add_nc_u32_e32 v8, 1, v4
	s_delay_alu instid0(VALU_DEP_2) | instskip(NEXT) | instid1(VALU_DEP_1)
	v_sub_nc_u32_e32 v7, v5, v7
	v_subrev_nc_u32_e32 v9, s20, v7
	v_cmp_le_u32_e32 vcc_lo, s20, v7
	s_wait_alu 0xfffd
	s_delay_alu instid0(VALU_DEP_2) | instskip(NEXT) | instid1(VALU_DEP_1)
	v_dual_cndmask_b32 v7, v7, v9 :: v_dual_cndmask_b32 v4, v4, v8
	v_cmp_le_u32_e32 vcc_lo, s20, v7
	s_delay_alu instid0(VALU_DEP_2) | instskip(SKIP_1) | instid1(VALU_DEP_1)
	v_add_nc_u32_e32 v8, 1, v4
	s_wait_alu 0xfffd
	v_dual_cndmask_b32 v7, v4, v8 :: v_dual_mov_b32 v8, v3
.LBB0_6:                                ;   in Loop: Header=BB0_2 Depth=1
	s_wait_alu 0xfffe
	s_or_b32 exec_lo, exec_lo, s2
	s_load_b64 s[22:23], s[14:15], 0x0
	s_delay_alu instid0(VALU_DEP_1)
	v_mul_lo_u32 v4, v8, s20
	v_mul_lo_u32 v11, v7, s21
	v_mad_co_u64_u32 v[9:10], null, v7, s20, 0
	s_add_nc_u64 s[16:17], s[16:17], 1
	s_add_nc_u64 s[14:15], s[14:15], 8
	s_wait_alu 0xfffe
	v_cmp_ge_u64_e64 s2, s[16:17], s[6:7]
	s_add_nc_u64 s[18:19], s[18:19], 8
	s_delay_alu instid0(VALU_DEP_2) | instskip(NEXT) | instid1(VALU_DEP_3)
	v_add3_u32 v4, v10, v11, v4
	v_sub_co_u32 v5, vcc_lo, v5, v9
	s_wait_alu 0xfffd
	s_delay_alu instid0(VALU_DEP_2) | instskip(SKIP_3) | instid1(VALU_DEP_2)
	v_sub_co_ci_u32_e32 v4, vcc_lo, v6, v4, vcc_lo
	s_and_b32 vcc_lo, exec_lo, s2
	s_wait_kmcnt 0x0
	v_mul_lo_u32 v6, s23, v5
	v_mul_lo_u32 v4, s22, v4
	v_mad_co_u64_u32 v[1:2], null, s22, v5, v[1:2]
	s_delay_alu instid0(VALU_DEP_1)
	v_add3_u32 v2, v6, v2, v4
	s_wait_alu 0xfffe
	s_cbranch_vccnz .LBB0_9
; %bb.7:                                ;   in Loop: Header=BB0_2 Depth=1
	v_dual_mov_b32 v5, v7 :: v_dual_mov_b32 v6, v8
	s_branch .LBB0_2
.LBB0_8:
	v_dual_mov_b32 v8, v6 :: v_dual_mov_b32 v7, v5
.LBB0_9:
	s_lshl_b64 s[2:3], s[6:7], 3
	v_mul_hi_u32 v3, 0x10db20b, v0
	s_wait_alu 0xfffe
	s_add_nc_u64 s[2:3], s[12:13], s[2:3]
                                        ; implicit-def: $vgpr13
	s_load_b64 s[2:3], s[2:3], 0x0
	s_load_b64 s[0:1], s[0:1], 0x20
	s_delay_alu instid0(VALU_DEP_1) | instskip(NEXT) | instid1(VALU_DEP_1)
	v_mul_u32_u24_e32 v3, 0xf3, v3
	v_sub_nc_u32_e32 v12, v0, v3
	s_wait_kmcnt 0x0
	v_mul_lo_u32 v4, s2, v8
	v_mul_lo_u32 v5, s3, v7
	v_mad_co_u64_u32 v[1:2], null, s2, v7, v[1:2]
	v_cmp_gt_u64_e32 vcc_lo, s[0:1], v[7:8]
	v_cmp_le_u64_e64 s0, s[0:1], v[7:8]
	s_delay_alu instid0(VALU_DEP_3) | instskip(NEXT) | instid1(VALU_DEP_2)
	v_add3_u32 v2, v5, v2, v4
	s_and_saveexec_b32 s1, s0
	s_wait_alu 0xfffe
	s_xor_b32 s0, exec_lo, s1
; %bb.10:
	v_add_nc_u32_e32 v13, 0xf3, v12
; %bb.11:
	s_wait_alu 0xfffe
	s_or_saveexec_b32 s1, s0
	v_lshlrev_b64_e32 v[0:1], 3, v[1:2]
                                        ; implicit-def: $vgpr5
                                        ; implicit-def: $vgpr7
                                        ; implicit-def: $vgpr11
                                        ; implicit-def: $vgpr9
                                        ; implicit-def: $vgpr3
	s_wait_alu 0xfffe
	s_xor_b32 exec_lo, exec_lo, s1
	s_cbranch_execz .LBB0_13
; %bb.12:
	v_add_nc_u32_e32 v13, 0xf3, v12
	v_add_nc_u32_e32 v11, 0x1e6, v12
	v_mad_co_u64_u32 v[2:3], null, s8, v12, 0
	v_add_nc_u32_e32 v19, 0x3cc, v12
	s_delay_alu instid0(VALU_DEP_4) | instskip(NEXT) | instid1(VALU_DEP_4)
	v_mad_co_u64_u32 v[4:5], null, s8, v13, 0
	v_mad_co_u64_u32 v[6:7], null, s8, v11, 0
	v_add_nc_u32_e32 v18, 0x2d9, v12
	v_add_co_u32 v20, s0, s10, v0
	s_wait_alu 0xf1ff
	v_add_co_ci_u32_e64 v21, s0, s11, v1, s0
	v_mad_co_u64_u32 v[8:9], null, s9, v12, v[3:4]
	v_mov_b32_e32 v3, v5
	v_mov_b32_e32 v5, v7
	v_mad_co_u64_u32 v[9:10], null, s8, v18, 0
	s_delay_alu instid0(VALU_DEP_3) | instskip(NEXT) | instid1(VALU_DEP_3)
	v_mad_co_u64_u32 v[14:15], null, s9, v13, v[3:4]
	v_mad_co_u64_u32 v[15:16], null, s9, v11, v[5:6]
	;; [unrolled: 1-line block ×3, first 2 shown]
	s_delay_alu instid0(VALU_DEP_4) | instskip(NEXT) | instid1(VALU_DEP_4)
	v_dual_mov_b32 v3, v8 :: v_dual_mov_b32 v8, v10
	v_mov_b32_e32 v5, v14
	s_delay_alu instid0(VALU_DEP_4) | instskip(NEXT) | instid1(VALU_DEP_3)
	v_mov_b32_e32 v7, v15
	v_lshlrev_b64_e32 v[2:3], 3, v[2:3]
	s_delay_alu instid0(VALU_DEP_4) | instskip(SKIP_4) | instid1(VALU_DEP_4)
	v_mad_co_u64_u32 v[10:11], null, s9, v18, v[8:9]
	v_mov_b32_e32 v8, v17
	v_lshlrev_b64_e32 v[4:5], 3, v[4:5]
	v_lshlrev_b64_e32 v[6:7], 3, v[6:7]
	v_add_co_u32 v2, s0, v20, v2
	v_mad_co_u64_u32 v[14:15], null, s9, v19, v[8:9]
	s_wait_alu 0xf1ff
	v_add_co_ci_u32_e64 v3, s0, v21, v3, s0
	v_add_co_u32 v4, s0, v20, v4
	v_lshlrev_b64_e32 v[8:9], 3, v[9:10]
	s_wait_alu 0xf1ff
	v_add_co_ci_u32_e64 v5, s0, v21, v5, s0
	v_mov_b32_e32 v17, v14
	v_add_co_u32 v6, s0, v20, v6
	s_wait_alu 0xf1ff
	v_add_co_ci_u32_e64 v7, s0, v21, v7, s0
	s_delay_alu instid0(VALU_DEP_3) | instskip(SKIP_3) | instid1(VALU_DEP_3)
	v_lshlrev_b64_e32 v[10:11], 3, v[16:17]
	v_add_co_u32 v14, s0, v20, v8
	s_wait_alu 0xf1ff
	v_add_co_ci_u32_e64 v15, s0, v21, v9, s0
	v_add_co_u32 v16, s0, v20, v10
	s_wait_alu 0xf1ff
	v_add_co_ci_u32_e64 v17, s0, v21, v11, s0
	s_clause 0x4
	global_load_b64 v[2:3], v[2:3], off
	global_load_b64 v[8:9], v[4:5], off
	;; [unrolled: 1-line block ×5, first 2 shown]
.LBB0_13:
	s_or_b32 exec_lo, exec_lo, s1
	s_wait_loadcnt 0x0
	v_dual_add_f32 v14, v6, v10 :: v_dual_sub_f32 v17, v9, v5
	v_dual_add_f32 v15, v8, v2 :: v_dual_sub_f32 v18, v11, v7
	v_add_f32_e32 v19, v4, v8
	s_delay_alu instid0(VALU_DEP_3) | instskip(NEXT) | instid1(VALU_DEP_3)
	v_fma_f32 v16, -0.5, v14, v2
	v_dual_sub_f32 v14, v8, v10 :: v_dual_add_f32 v15, v10, v15
	v_sub_f32_e32 v20, v4, v6
	s_delay_alu instid0(VALU_DEP_4) | instskip(NEXT) | instid1(VALU_DEP_4)
	v_dual_fmac_f32 v2, -0.5, v19 :: v_dual_sub_f32 v21, v10, v8
	v_fmamk_f32 v19, v17, 0x3f737871, v16
	s_delay_alu instid0(VALU_DEP_3) | instskip(SKIP_1) | instid1(VALU_DEP_3)
	v_dual_add_f32 v15, v6, v15 :: v_dual_add_f32 v14, v20, v14
	v_fmac_f32_e32 v16, 0xbf737871, v17
	v_dual_sub_f32 v22, v6, v4 :: v_dual_fmac_f32 v19, 0x3f167918, v18
	v_fmamk_f32 v23, v18, 0xbf737871, v2
	s_delay_alu instid0(VALU_DEP_4) | instskip(NEXT) | instid1(VALU_DEP_4)
	v_dual_fmac_f32 v2, 0x3f737871, v18 :: v_dual_add_f32 v15, v4, v15
	v_fmac_f32_e32 v16, 0xbf167918, v18
	s_delay_alu instid0(VALU_DEP_4) | instskip(NEXT) | instid1(VALU_DEP_3)
	v_dual_add_f32 v20, v22, v21 :: v_dual_fmac_f32 v19, 0x3e9e377a, v14
	v_fmac_f32_e32 v2, 0xbf167918, v17
	v_mad_u32_u24 v21, v12, 20, 0
	s_delay_alu instid0(VALU_DEP_4) | instskip(SKIP_1) | instid1(VALU_DEP_4)
	v_fmac_f32_e32 v16, 0x3e9e377a, v14
	v_dual_fmac_f32 v23, 0x3f167918, v17 :: v_dual_lshlrev_b32 v14, 4, v12
	v_fmac_f32_e32 v2, 0x3e9e377a, v20
	v_cmp_gt_u32_e64 s0, 0xa2, v12
	s_delay_alu instid0(VALU_DEP_3)
	v_fmac_f32_e32 v23, 0x3e9e377a, v20
	ds_store_2addr_b32 v21, v15, v19 offset1:1
	ds_store_2addr_b32 v21, v23, v2 offset0:2 offset1:3
	ds_store_b32 v21, v16 offset:16
	v_sub_nc_u32_e32 v15, v21, v14
	global_wb scope:SCOPE_SE
	s_wait_dscnt 0x0
	s_barrier_signal -1
	s_barrier_wait -1
	global_inv scope:SCOPE_SE
	ds_load_b32 v17, v15
	ds_load_b32 v19, v15 offset:1620
	ds_load_b32 v18, v15 offset:3240
	v_sub_nc_u32_e32 v14, 0, v14
	v_lshl_add_u32 v15, v13, 2, 0
                                        ; implicit-def: $vgpr20
	s_delay_alu instid0(VALU_DEP_2)
	v_add_nc_u32_e32 v14, v21, v14
	s_and_saveexec_b32 s1, s0
	s_cbranch_execz .LBB0_15
; %bb.14:
	ds_load_b32 v16, v14 offset:2592
	ds_load_b32 v2, v15
	ds_load_b32 v20, v14 offset:4212
.LBB0_15:
	s_wait_alu 0xfffe
	s_or_b32 exec_lo, exec_lo, s1
	v_dual_add_f32 v23, v9, v3 :: v_dual_sub_f32 v4, v8, v4
	v_sub_f32_e32 v8, v10, v6
	global_wb scope:SCOPE_SE
	s_wait_dscnt 0x0
	s_barrier_signal -1
	v_dual_add_f32 v23, v11, v23 :: v_dual_add_f32 v10, v5, v9
	v_add_f32_e32 v22, v7, v11
	s_barrier_wait -1
	global_inv scope:SCOPE_SE
	v_fma_f32 v6, -0.5, v22, v3
	v_dual_sub_f32 v22, v9, v11 :: v_dual_sub_f32 v9, v11, v9
	v_add_f32_e32 v11, v7, v23
	v_dual_fmac_f32 v3, -0.5, v10 :: v_dual_sub_f32 v24, v5, v7
	s_delay_alu instid0(VALU_DEP_4) | instskip(NEXT) | instid1(VALU_DEP_2)
	v_dual_fmamk_f32 v10, v4, 0xbf737871, v6 :: v_dual_sub_f32 v7, v7, v5
	v_dual_fmac_f32 v6, 0x3f737871, v4 :: v_dual_fmamk_f32 v23, v8, 0x3f737871, v3
	s_delay_alu instid0(VALU_DEP_3) | instskip(NEXT) | instid1(VALU_DEP_3)
	v_dual_fmac_f32 v3, 0xbf737871, v8 :: v_dual_add_f32 v22, v24, v22
	v_dual_fmac_f32 v10, 0xbf167918, v8 :: v_dual_add_f32 v7, v7, v9
	s_delay_alu instid0(VALU_DEP_3) | instskip(NEXT) | instid1(VALU_DEP_4)
	v_fmac_f32_e32 v6, 0x3f167918, v8
	v_fmac_f32_e32 v23, 0xbf167918, v4
	s_delay_alu instid0(VALU_DEP_4) | instskip(NEXT) | instid1(VALU_DEP_4)
	v_dual_fmac_f32 v3, 0x3f167918, v4 :: v_dual_add_f32 v4, v5, v11
	v_fmac_f32_e32 v10, 0x3e9e377a, v22
	s_delay_alu instid0(VALU_DEP_3) | instskip(NEXT) | instid1(VALU_DEP_3)
	v_dual_fmac_f32 v6, 0x3e9e377a, v22 :: v_dual_fmac_f32 v23, 0x3e9e377a, v7
	v_fmac_f32_e32 v3, 0x3e9e377a, v7
	ds_store_2addr_b32 v21, v4, v10 offset1:1
	ds_store_2addr_b32 v21, v23, v3 offset0:2 offset1:3
	ds_store_b32 v21, v6 offset:16
	global_wb scope:SCOPE_SE
	s_wait_dscnt 0x0
	s_barrier_signal -1
	s_barrier_wait -1
	global_inv scope:SCOPE_SE
	ds_load_b32 v8, v14
	ds_load_b32 v9, v14 offset:1620
	ds_load_b32 v7, v14 offset:3240
                                        ; implicit-def: $vgpr11
	s_and_saveexec_b32 s1, s0
	s_cbranch_execz .LBB0_17
; %bb.16:
	ds_load_b32 v6, v14 offset:2592
	ds_load_b32 v3, v15
	ds_load_b32 v11, v14 offset:4212
.LBB0_17:
	s_wait_alu 0xfffe
	s_or_b32 exec_lo, exec_lo, s1
	v_and_b32_e32 v5, 0xff, v12
	v_and_b32_e32 v4, 0xffff, v13
	s_delay_alu instid0(VALU_DEP_2) | instskip(NEXT) | instid1(VALU_DEP_2)
	v_mul_lo_u16 v10, 0xcd, v5
	v_mul_u32_u24_e32 v21, 0xcccd, v4
	s_delay_alu instid0(VALU_DEP_2) | instskip(NEXT) | instid1(VALU_DEP_2)
	v_lshrrev_b16 v10, 10, v10
	v_lshrrev_b32_e32 v21, 18, v21
	s_delay_alu instid0(VALU_DEP_2) | instskip(NEXT) | instid1(VALU_DEP_2)
	v_mul_lo_u16 v22, v10, 5
	v_mul_lo_u16 v23, v21, 5
	;; [unrolled: 1-line block ×3, first 2 shown]
	s_delay_alu instid0(VALU_DEP_3) | instskip(NEXT) | instid1(VALU_DEP_3)
	v_sub_nc_u16 v22, v12, v22
	v_sub_nc_u16 v23, v13, v23
	s_delay_alu instid0(VALU_DEP_2) | instskip(NEXT) | instid1(VALU_DEP_2)
	v_and_b32_e32 v22, 0xff, v22
	v_and_b32_e32 v23, 0xffff, v23
	s_delay_alu instid0(VALU_DEP_2) | instskip(NEXT) | instid1(VALU_DEP_2)
	v_lshlrev_b32_e32 v24, 4, v22
	v_lshlrev_b32_e32 v25, 4, v23
	s_clause 0x1
	global_load_b128 v[26:29], v24, s[4:5]
	global_load_b128 v[30:33], v25, s[4:5]
	v_and_b32_e32 v10, 0xffff, v10
	global_wb scope:SCOPE_SE
	s_wait_loadcnt_dscnt 0x0
	s_barrier_signal -1
	s_barrier_wait -1
	global_inv scope:SCOPE_SE
	v_mul_u32_u24_e32 v24, 60, v10
	v_dual_mul_f32 v35, v7, v29 :: v_dual_lshlrev_b32 v22, 2, v22
	v_mul_f32_e32 v25, v16, v31
	v_mul_f32_e32 v34, v9, v27
	;; [unrolled: 1-line block ×3, first 2 shown]
	s_delay_alu instid0(VALU_DEP_4)
	v_add3_u32 v22, 0, v24, v22
	v_mul_f32_e32 v24, v20, v33
	v_dual_mul_f32 v23, v18, v29 :: v_dual_lshlrev_b32 v10, 2, v23
	v_mul_f32_e32 v29, v6, v31
	v_mul_f32_e32 v31, v11, v33
	v_fma_f32 v19, v19, v26, -v34
	v_fmac_f32_e32 v24, v11, v32
	v_fmac_f32_e32 v23, v7, v28
	v_fma_f32 v7, v16, v30, -v29
	v_fmac_f32_e32 v27, v9, v26
	v_fma_f32 v26, v18, v28, -v35
	v_fma_f32 v18, v20, v32, -v31
	v_add_f32_e32 v9, v17, v19
	s_delay_alu instid0(VALU_DEP_2) | instskip(NEXT) | instid1(VALU_DEP_1)
	v_dual_add_f32 v20, v2, v7 :: v_dual_add_f32 v11, v7, v18
	v_dual_fmac_f32 v2, -0.5, v11 :: v_dual_fmac_f32 v25, v6, v30
	v_sub_f32_e32 v16, v27, v23
	v_add_f32_e32 v6, v19, v26
	s_delay_alu instid0(VALU_DEP_1) | instskip(NEXT) | instid1(VALU_DEP_1)
	v_dual_sub_f32 v28, v25, v24 :: v_dual_fmac_f32 v17, -0.5, v6
	v_fmamk_f32 v11, v28, 0x3f5db3d7, v2
	v_dual_fmac_f32 v2, 0xbf5db3d7, v28 :: v_dual_add_f32 v9, v9, v26
	v_add_f32_e32 v6, v20, v18
	s_delay_alu instid0(VALU_DEP_4)
	v_fmamk_f32 v20, v16, 0x3f5db3d7, v17
	v_fmac_f32_e32 v17, 0xbf5db3d7, v16
	ds_store_2addr_b32 v22, v9, v20 offset1:5
	ds_store_b32 v22, v17 offset:40
	s_and_saveexec_b32 s1, s0
	s_cbranch_execz .LBB0_19
; %bb.18:
	v_and_b32_e32 v9, 0xffff, v21
	s_delay_alu instid0(VALU_DEP_1) | instskip(NEXT) | instid1(VALU_DEP_1)
	v_lshlrev_b32_e32 v9, 2, v9
	v_add3_u32 v9, 0, v10, v9
	ds_store_2addr_b32 v9, v6, v11 offset1:5
	ds_store_b32 v9, v2 offset:40
.LBB0_19:
	s_wait_alu 0xfffe
	s_or_b32 exec_lo, exec_lo, s1
	global_wb scope:SCOPE_SE
	s_wait_dscnt 0x0
	s_barrier_signal -1
	s_barrier_wait -1
	global_inv scope:SCOPE_SE
	ds_load_b32 v9, v14
	ds_load_b32 v17, v14 offset:1620
	ds_load_b32 v16, v14 offset:3240
	s_and_saveexec_b32 s1, s0
	s_cbranch_execz .LBB0_21
; %bb.20:
	ds_load_b32 v11, v14 offset:2592
	ds_load_b32 v6, v15
	ds_load_b32 v2, v14 offset:4212
.LBB0_21:
	s_wait_alu 0xfffe
	s_or_b32 exec_lo, exec_lo, s1
	v_dual_add_f32 v28, v25, v24 :: v_dual_sub_f32 v19, v19, v26
	v_add_f32_e32 v20, v27, v23
	v_add_f32_e32 v27, v8, v27
	global_wb scope:SCOPE_SE
	s_wait_dscnt 0x0
	s_barrier_signal -1
	s_barrier_wait -1
	v_fmac_f32_e32 v8, -0.5, v20
	v_add_f32_e32 v20, v3, v25
	v_sub_f32_e32 v25, v7, v18
	v_fmac_f32_e32 v3, -0.5, v28
	global_inv scope:SCOPE_SE
	v_dual_fmamk_f32 v26, v19, 0xbf5db3d7, v8 :: v_dual_add_f32 v7, v20, v24
	v_fmac_f32_e32 v8, 0x3f5db3d7, v19
	v_dual_add_f32 v23, v27, v23 :: v_dual_fmamk_f32 v18, v25, 0xbf5db3d7, v3
	v_fmac_f32_e32 v3, 0x3f5db3d7, v25
	ds_store_2addr_b32 v22, v23, v26 offset1:5
	ds_store_b32 v22, v8 offset:40
	s_and_saveexec_b32 s1, s0
	s_cbranch_execz .LBB0_23
; %bb.22:
	v_and_b32_e32 v8, 0xffff, v21
	s_delay_alu instid0(VALU_DEP_1) | instskip(NEXT) | instid1(VALU_DEP_1)
	v_lshlrev_b32_e32 v8, 2, v8
	v_add3_u32 v8, 0, v10, v8
	ds_store_2addr_b32 v8, v7, v18 offset1:5
	ds_store_b32 v8, v3 offset:40
.LBB0_23:
	s_wait_alu 0xfffe
	s_or_b32 exec_lo, exec_lo, s1
	global_wb scope:SCOPE_SE
	s_wait_dscnt 0x0
	s_barrier_signal -1
	s_barrier_wait -1
	global_inv scope:SCOPE_SE
	ds_load_b32 v10, v14
	ds_load_b32 v22, v14 offset:1620
	ds_load_b32 v8, v14 offset:3240
	s_and_saveexec_b32 s1, s0
	s_cbranch_execz .LBB0_25
; %bb.24:
	ds_load_b32 v18, v14 offset:2592
	ds_load_b32 v7, v15
	ds_load_b32 v3, v14 offset:4212
.LBB0_25:
	s_wait_alu 0xfffe
	s_or_b32 exec_lo, exec_lo, s1
	v_mul_lo_u16 v19, 0x89, v5
	v_mul_u32_u24_e32 v20, 0x8889, v4
	s_delay_alu instid0(VALU_DEP_2) | instskip(NEXT) | instid1(VALU_DEP_2)
	v_lshrrev_b16 v19, 11, v19
	v_lshrrev_b32_e32 v20, 19, v20
	s_delay_alu instid0(VALU_DEP_2) | instskip(NEXT) | instid1(VALU_DEP_2)
	v_mul_lo_u16 v21, v19, 15
	v_mul_lo_u16 v23, v20, 15
	;; [unrolled: 1-line block ×3, first 2 shown]
	s_delay_alu instid0(VALU_DEP_3) | instskip(NEXT) | instid1(VALU_DEP_3)
	v_sub_nc_u16 v21, v12, v21
	v_sub_nc_u16 v23, v13, v23
	s_delay_alu instid0(VALU_DEP_2) | instskip(NEXT) | instid1(VALU_DEP_2)
	v_and_b32_e32 v21, 0xff, v21
	v_and_b32_e32 v23, 0xffff, v23
	s_delay_alu instid0(VALU_DEP_2) | instskip(NEXT) | instid1(VALU_DEP_2)
	v_lshlrev_b32_e32 v24, 4, v21
	v_lshlrev_b32_e32 v25, 4, v23
	s_clause 0x1
	global_load_b128 v[27:30], v24, s[4:5] offset:80
	global_load_b128 v[31:34], v25, s[4:5] offset:80
	v_and_b32_e32 v19, 0xffff, v19
	global_wb scope:SCOPE_SE
	s_wait_loadcnt_dscnt 0x0
	s_barrier_signal -1
	s_barrier_wait -1
	global_inv scope:SCOPE_SE
	v_mul_u32_u24_e32 v24, 0xb4, v19
	v_dual_mul_f32 v26, v22, v28 :: v_dual_lshlrev_b32 v21, 2, v21
	v_dual_mul_f32 v28, v17, v28 :: v_dual_mul_f32 v35, v8, v30
	s_delay_alu instid0(VALU_DEP_2) | instskip(NEXT) | instid1(VALU_DEP_3)
	v_fma_f32 v26, v17, v27, -v26
	v_add3_u32 v21, 0, v24, v21
	v_dual_mul_f32 v24, v2, v34 :: v_dual_lshlrev_b32 v19, 2, v23
	s_delay_alu instid0(VALU_DEP_4)
	v_dual_mul_f32 v23, v16, v30 :: v_dual_fmac_f32 v28, v22, v27
	v_mul_f32_e32 v30, v18, v32
	v_fma_f32 v27, v16, v29, -v35
	v_mul_f32_e32 v25, v11, v32
	v_mul_f32_e32 v32, v3, v34
	v_fmac_f32_e32 v24, v3, v33
	v_fma_f32 v17, v11, v31, -v30
	v_add_f32_e32 v3, v9, v26
	s_delay_alu instid0(VALU_DEP_4) | instskip(SKIP_1) | instid1(VALU_DEP_3)
	v_fma_f32 v22, v2, v33, -v32
	v_dual_fmac_f32 v23, v8, v29 :: v_dual_add_f32 v2, v26, v27
	v_dual_add_f32 v16, v6, v17 :: v_dual_add_f32 v3, v3, v27
	s_delay_alu instid0(VALU_DEP_3) | instskip(NEXT) | instid1(VALU_DEP_1)
	v_dual_add_f32 v8, v17, v22 :: v_dual_fmac_f32 v25, v18, v31
	v_dual_fmac_f32 v6, -0.5, v8 :: v_dual_sub_f32 v11, v28, v23
	s_delay_alu instid0(VALU_DEP_2) | instskip(NEXT) | instid1(VALU_DEP_4)
	v_dual_sub_f32 v18, v25, v24 :: v_dual_fmac_f32 v9, -0.5, v2
	v_add_f32_e32 v2, v16, v22
	s_delay_alu instid0(VALU_DEP_2) | instskip(NEXT) | instid1(VALU_DEP_3)
	v_fmamk_f32 v8, v18, 0x3f5db3d7, v6
	v_fmamk_f32 v16, v11, 0x3f5db3d7, v9
	v_dual_fmac_f32 v9, 0xbf5db3d7, v11 :: v_dual_fmac_f32 v6, 0xbf5db3d7, v18
	ds_store_2addr_b32 v21, v3, v16 offset1:15
	ds_store_b32 v21, v9 offset:120
	s_and_saveexec_b32 s1, s0
	s_cbranch_execz .LBB0_27
; %bb.26:
	v_and_b32_e32 v3, 0xffff, v20
	s_delay_alu instid0(VALU_DEP_1) | instskip(NEXT) | instid1(VALU_DEP_1)
	v_lshlrev_b32_e32 v3, 2, v3
	v_add3_u32 v3, 0, v19, v3
	ds_store_2addr_b32 v3, v2, v8 offset1:15
	ds_store_b32 v3, v6 offset:120
.LBB0_27:
	s_wait_alu 0xfffe
	s_or_b32 exec_lo, exec_lo, s1
	global_wb scope:SCOPE_SE
	s_wait_dscnt 0x0
	s_barrier_signal -1
	s_barrier_wait -1
	global_inv scope:SCOPE_SE
	ds_load_b32 v9, v14
	ds_load_b32 v16, v14 offset:1620
	ds_load_b32 v11, v14 offset:3240
	s_and_saveexec_b32 s1, s0
	s_cbranch_execz .LBB0_29
; %bb.28:
	ds_load_b32 v8, v14 offset:2592
	ds_load_b32 v2, v15
	ds_load_b32 v6, v14 offset:4212
.LBB0_29:
	s_wait_alu 0xfffe
	s_or_b32 exec_lo, exec_lo, s1
	v_dual_add_f32 v3, v28, v23 :: v_dual_add_f32 v18, v10, v28
	v_add_f32_e32 v28, v25, v24
	v_sub_f32_e32 v26, v26, v27
	global_wb scope:SCOPE_SE
	s_wait_dscnt 0x0
	v_dual_fmac_f32 v10, -0.5, v3 :: v_dual_add_f32 v3, v7, v25
	v_fmac_f32_e32 v7, -0.5, v28
	s_barrier_signal -1
	s_barrier_wait -1
	global_inv scope:SCOPE_SE
	v_dual_add_f32 v3, v3, v24 :: v_dual_sub_f32 v22, v17, v22
	v_add_f32_e32 v18, v18, v23
	v_fmamk_f32 v23, v26, 0xbf5db3d7, v10
	v_fmac_f32_e32 v10, 0x3f5db3d7, v26
	s_delay_alu instid0(VALU_DEP_4)
	v_fmamk_f32 v17, v22, 0xbf5db3d7, v7
	v_fmac_f32_e32 v7, 0x3f5db3d7, v22
	ds_store_2addr_b32 v21, v18, v23 offset1:15
	ds_store_b32 v21, v10 offset:120
	s_and_saveexec_b32 s1, s0
	s_cbranch_execz .LBB0_31
; %bb.30:
	v_and_b32_e32 v10, 0xffff, v20
	s_delay_alu instid0(VALU_DEP_1) | instskip(NEXT) | instid1(VALU_DEP_1)
	v_lshlrev_b32_e32 v10, 2, v10
	v_add3_u32 v10, 0, v19, v10
	ds_store_2addr_b32 v10, v3, v17 offset1:15
	ds_store_b32 v10, v7 offset:120
.LBB0_31:
	s_wait_alu 0xfffe
	s_or_b32 exec_lo, exec_lo, s1
	global_wb scope:SCOPE_SE
	s_wait_dscnt 0x0
	s_barrier_signal -1
	s_barrier_wait -1
	global_inv scope:SCOPE_SE
	ds_load_b32 v10, v14
	ds_load_b32 v21, v14 offset:1620
	ds_load_b32 v20, v14 offset:3240
	s_and_saveexec_b32 s1, s0
	s_cbranch_execz .LBB0_33
; %bb.32:
	ds_load_b32 v17, v14 offset:2592
	ds_load_b32 v3, v15
	ds_load_b32 v7, v14 offset:4212
.LBB0_33:
	s_wait_alu 0xfffe
	s_or_b32 exec_lo, exec_lo, s1
	v_mul_lo_u16 v5, 0x6d, v5
	s_delay_alu instid0(VALU_DEP_1) | instskip(NEXT) | instid1(VALU_DEP_1)
	v_lshrrev_b16 v5, 8, v5
	v_sub_nc_u16 v18, v12, v5
	s_delay_alu instid0(VALU_DEP_1) | instskip(NEXT) | instid1(VALU_DEP_1)
	v_lshrrev_b16 v18, 1, v18
	v_and_b32_e32 v18, 0x7f, v18
	s_delay_alu instid0(VALU_DEP_1) | instskip(SKIP_1) | instid1(VALU_DEP_2)
	v_add_nc_u16 v5, v18, v5
	v_mul_u32_u24_e32 v18, 0x2d83, v4
	v_lshrrev_b16 v5, 5, v5
	s_delay_alu instid0(VALU_DEP_2) | instskip(NEXT) | instid1(VALU_DEP_2)
	v_lshrrev_b32_e32 v18, 19, v18
	v_mul_lo_u16 v19, v5, 45
	s_delay_alu instid0(VALU_DEP_2) | instskip(NEXT) | instid1(VALU_DEP_2)
	v_mul_lo_u16 v22, v18, 45
	v_sub_nc_u16 v19, v12, v19
	s_delay_alu instid0(VALU_DEP_2) | instskip(NEXT) | instid1(VALU_DEP_2)
	v_sub_nc_u16 v22, v13, v22
	v_and_b32_e32 v19, 0xff, v19
	s_delay_alu instid0(VALU_DEP_2) | instskip(NEXT) | instid1(VALU_DEP_2)
	v_and_b32_e32 v22, 0xffff, v22
	v_lshlrev_b32_e32 v23, 4, v19
	s_delay_alu instid0(VALU_DEP_2)
	v_lshlrev_b32_e32 v24, 4, v22
	s_clause 0x1
	global_load_b128 v[28:31], v23, s[4:5] offset:320
	global_load_b128 v[32:35], v24, s[4:5] offset:320
	v_and_b32_e32 v5, 0xffff, v5
	global_wb scope:SCOPE_SE
	s_wait_loadcnt_dscnt 0x0
	s_barrier_signal -1
	s_barrier_wait -1
	global_inv scope:SCOPE_SE
	v_dual_mul_f32 v27, v16, v29 :: v_dual_mul_f32 v24, v6, v35
	v_mul_u32_u24_e32 v5, 0x21c, v5
	v_mul_f32_e32 v25, v8, v33
	s_delay_alu instid0(VALU_DEP_3) | instskip(SKIP_3) | instid1(VALU_DEP_3)
	v_dual_fmac_f32 v27, v21, v28 :: v_dual_fmac_f32 v24, v7, v34
	v_lshlrev_b32_e32 v23, 2, v19
	v_mul_lo_u16 v19, 0x87, v18
	v_lshlrev_b32_e32 v18, 2, v22
	v_add3_u32 v22, 0, v5, v23
	v_mul_f32_e32 v23, v11, v31
	v_mul_f32_e32 v5, v21, v29
	;; [unrolled: 1-line block ×3, first 2 shown]
	s_delay_alu instid0(VALU_DEP_3) | instskip(SKIP_4) | instid1(VALU_DEP_4)
	v_fmac_f32_e32 v23, v20, v30
	v_mul_f32_e32 v31, v17, v33
	v_mul_f32_e32 v33, v7, v35
	v_fma_f32 v26, v16, v28, -v5
	v_fma_f32 v21, v11, v30, -v29
	;; [unrolled: 1-line block ×3, first 2 shown]
	s_delay_alu instid0(VALU_DEP_4) | instskip(NEXT) | instid1(VALU_DEP_3)
	v_fma_f32 v20, v6, v34, -v33
	v_dual_add_f32 v6, v9, v26 :: v_dual_add_f32 v5, v26, v21
	s_delay_alu instid0(VALU_DEP_3) | instskip(NEXT) | instid1(VALU_DEP_3)
	v_dual_sub_f32 v8, v27, v23 :: v_dual_add_f32 v11, v2, v16
	v_add_f32_e32 v7, v16, v20
	s_delay_alu instid0(VALU_DEP_1) | instskip(SKIP_1) | instid1(VALU_DEP_4)
	v_dual_fmac_f32 v9, -0.5, v5 :: v_dual_fmac_f32 v2, -0.5, v7
	v_fmac_f32_e32 v25, v17, v32
	v_dual_add_f32 v7, v6, v21 :: v_dual_add_f32 v6, v11, v20
	s_delay_alu instid0(VALU_DEP_3) | instskip(SKIP_1) | instid1(VALU_DEP_4)
	v_fmamk_f32 v11, v8, 0x3f5db3d7, v9
	v_fmac_f32_e32 v9, 0xbf5db3d7, v8
	v_sub_f32_e32 v5, v25, v24
	ds_store_2addr_b32 v22, v7, v11 offset1:45
	ds_store_b32 v22, v9 offset:360
	v_fmamk_f32 v8, v5, 0x3f5db3d7, v2
	v_fmac_f32_e32 v2, 0xbf5db3d7, v5
	s_and_saveexec_b32 s1, s0
	s_cbranch_execz .LBB0_35
; %bb.34:
	v_and_b32_e32 v5, 0xffff, v19
	s_delay_alu instid0(VALU_DEP_1) | instskip(NEXT) | instid1(VALU_DEP_1)
	v_lshlrev_b32_e32 v5, 2, v5
	v_add3_u32 v5, 0, v18, v5
	ds_store_2addr_b32 v5, v6, v8 offset1:45
	ds_store_b32 v5, v2 offset:360
.LBB0_35:
	s_wait_alu 0xfffe
	s_or_b32 exec_lo, exec_lo, s1
	global_wb scope:SCOPE_SE
	s_wait_dscnt 0x0
	s_barrier_signal -1
	s_barrier_wait -1
	global_inv scope:SCOPE_SE
	ds_load_b32 v5, v14
	ds_load_b32 v11, v14 offset:1620
	ds_load_b32 v9, v14 offset:3240
	s_and_saveexec_b32 s1, s0
	s_cbranch_execz .LBB0_37
; %bb.36:
	ds_load_b32 v8, v14 offset:2592
	ds_load_b32 v6, v15
	ds_load_b32 v2, v14 offset:4212
.LBB0_37:
	s_wait_alu 0xfffe
	s_or_b32 exec_lo, exec_lo, s1
	v_dual_add_f32 v7, v27, v23 :: v_dual_sub_f32 v20, v16, v20
	v_sub_f32_e32 v21, v26, v21
	v_add_f32_e32 v17, v10, v27
	s_delay_alu instid0(VALU_DEP_3)
	v_dual_add_f32 v27, v25, v24 :: v_dual_fmac_f32 v10, -0.5, v7
	v_add_f32_e32 v7, v3, v25
	global_wb scope:SCOPE_SE
	s_wait_dscnt 0x0
	v_add_f32_e32 v17, v17, v23
	v_fmac_f32_e32 v3, -0.5, v27
	s_barrier_signal -1
	v_add_f32_e32 v7, v7, v24
	s_barrier_wait -1
	global_inv scope:SCOPE_SE
	v_dual_fmamk_f32 v16, v20, 0xbf5db3d7, v3 :: v_dual_fmamk_f32 v23, v21, 0xbf5db3d7, v10
	v_dual_fmac_f32 v3, 0x3f5db3d7, v20 :: v_dual_fmac_f32 v10, 0x3f5db3d7, v21
	ds_store_2addr_b32 v22, v17, v23 offset1:45
	ds_store_b32 v22, v10 offset:360
	s_and_saveexec_b32 s1, s0
	s_cbranch_execz .LBB0_39
; %bb.38:
	v_and_b32_e32 v10, 0xffff, v19
	s_delay_alu instid0(VALU_DEP_1) | instskip(NEXT) | instid1(VALU_DEP_1)
	v_lshlrev_b32_e32 v10, 2, v10
	v_add3_u32 v10, 0, v18, v10
	ds_store_2addr_b32 v10, v7, v16 offset1:45
	ds_store_b32 v10, v3 offset:360
.LBB0_39:
	s_wait_alu 0xfffe
	s_or_b32 exec_lo, exec_lo, s1
	global_wb scope:SCOPE_SE
	s_wait_dscnt 0x0
	s_barrier_signal -1
	s_barrier_wait -1
	global_inv scope:SCOPE_SE
	ds_load_b32 v10, v14
	ds_load_b32 v18, v14 offset:1620
	ds_load_b32 v17, v14 offset:3240
	s_and_saveexec_b32 s1, s0
	s_cbranch_execz .LBB0_41
; %bb.40:
	ds_load_b32 v16, v14 offset:2592
	ds_load_b32 v7, v15
	ds_load_b32 v3, v14 offset:4212
.LBB0_41:
	s_wait_alu 0xfffe
	s_or_b32 exec_lo, exec_lo, s1
	v_mul_u32_u24_e32 v4, 0x795d, v4
	v_dual_mov_b32 v20, 0 :: v_dual_add_nc_u32 v19, 0xffffff79, v12
	v_cmp_gt_u32_e64 s1, 0x87, v12
	s_delay_alu instid0(VALU_DEP_3) | instskip(SKIP_1) | instid1(VALU_DEP_2)
	v_lshrrev_b32_e32 v4, 22, v4
	s_wait_alu 0xf1ff
	v_cndmask_b32_e64 v21, v19, v12, s1
	s_delay_alu instid0(VALU_DEP_2) | instskip(SKIP_1) | instid1(VALU_DEP_3)
	v_mul_lo_u16 v22, 0x87, v4
	v_mul_lo_u16 v4, 0x195, v4
	v_lshlrev_b32_e32 v19, 1, v21
	s_delay_alu instid0(VALU_DEP_3) | instskip(NEXT) | instid1(VALU_DEP_2)
	v_sub_nc_u16 v22, v13, v22
	v_lshlrev_b64_e32 v[19:20], 3, v[19:20]
	s_delay_alu instid0(VALU_DEP_2) | instskip(NEXT) | instid1(VALU_DEP_2)
	v_and_b32_e32 v33, 0xffff, v22
	v_add_co_u32 v19, s1, s4, v19
	s_wait_alu 0xf1ff
	s_delay_alu instid0(VALU_DEP_3) | instskip(NEXT) | instid1(VALU_DEP_3)
	v_add_co_ci_u32_e64 v20, s1, s5, v20, s1
	v_lshlrev_b32_e32 v22, 4, v33
	s_clause 0x1
	global_load_b128 v[25:28], v[19:20], off offset:1040
	global_load_b128 v[29:32], v22, s[4:5] offset:1040
	v_cmp_lt_u32_e64 s1, 0x86, v12
	v_lshlrev_b32_e32 v20, 2, v21
	global_wb scope:SCOPE_SE
	s_wait_loadcnt_dscnt 0x0
	s_barrier_signal -1
	s_barrier_wait -1
	s_wait_alu 0xf1ff
	v_cndmask_b32_e64 v19, 0, 0x654, s1
	global_inv scope:SCOPE_SE
	v_mul_f32_e32 v23, v18, v26
	v_mul_f32_e32 v21, v2, v32
	v_add3_u32 v19, 0, v19, v20
	v_mul_f32_e32 v26, v11, v26
	v_mul_f32_e32 v20, v9, v28
	s_delay_alu instid0(VALU_DEP_4)
	v_dual_mul_f32 v24, v17, v28 :: v_dual_fmac_f32 v21, v3, v31
	v_fma_f32 v23, v11, v25, -v23
	v_mul_f32_e32 v28, v16, v30
	v_fmac_f32_e32 v26, v18, v25
	v_fmac_f32_e32 v20, v17, v27
	v_mul_f32_e32 v22, v8, v30
	v_mul_f32_e32 v30, v3, v32
	v_fma_f32 v25, v9, v27, -v24
	v_add_f32_e32 v3, v5, v23
	v_fma_f32 v9, v8, v29, -v28
	v_sub_f32_e32 v11, v26, v20
	v_fma_f32 v24, v2, v31, -v30
	v_fmac_f32_e32 v22, v16, v29
	v_add_f32_e32 v2, v23, v25
	v_add_f32_e32 v16, v6, v9
	s_delay_alu instid0(VALU_DEP_4) | instskip(NEXT) | instid1(VALU_DEP_4)
	v_dual_add_f32 v3, v3, v25 :: v_dual_add_f32 v8, v9, v24
	v_sub_f32_e32 v17, v22, v21
	s_delay_alu instid0(VALU_DEP_3) | instskip(SKIP_1) | instid1(VALU_DEP_4)
	v_dual_fmac_f32 v5, -0.5, v2 :: v_dual_add_f32 v2, v16, v24
	v_lshlrev_b32_e32 v18, 2, v33
	v_fmac_f32_e32 v6, -0.5, v8
	s_delay_alu instid0(VALU_DEP_3)
	v_fmamk_f32 v16, v11, 0x3f5db3d7, v5
	v_fmac_f32_e32 v5, 0xbf5db3d7, v11
	ds_store_2addr_b32 v19, v3, v16 offset1:135
	ds_store_b32 v19, v5 offset:1080
	v_fmamk_f32 v8, v17, 0x3f5db3d7, v6
	v_fmac_f32_e32 v6, 0xbf5db3d7, v17
	s_and_saveexec_b32 s1, s0
	s_cbranch_execz .LBB0_43
; %bb.42:
	v_and_b32_e32 v3, 0xffff, v4
	s_delay_alu instid0(VALU_DEP_1) | instskip(NEXT) | instid1(VALU_DEP_1)
	v_lshlrev_b32_e32 v3, 2, v3
	v_add3_u32 v3, 0, v18, v3
	ds_store_2addr_b32 v3, v2, v8 offset1:135
	ds_store_b32 v3, v6 offset:1080
.LBB0_43:
	s_wait_alu 0xfffe
	s_or_b32 exec_lo, exec_lo, s1
	global_wb scope:SCOPE_SE
	s_wait_dscnt 0x0
	s_barrier_signal -1
	s_barrier_wait -1
	global_inv scope:SCOPE_SE
	ds_load_b32 v11, v14
	ds_load_b32 v16, v14 offset:1620
	ds_load_b32 v17, v14 offset:3240
	s_and_saveexec_b32 s1, s0
	s_cbranch_execz .LBB0_45
; %bb.44:
	ds_load_b32 v8, v14 offset:2592
	ds_load_b32 v2, v15
	ds_load_b32 v6, v14 offset:4212
.LBB0_45:
	s_wait_alu 0xfffe
	s_or_b32 exec_lo, exec_lo, s1
	v_sub_f32_e32 v23, v23, v25
	v_add_f32_e32 v3, v26, v20
	v_add_f32_e32 v5, v10, v26
	;; [unrolled: 1-line block ×3, first 2 shown]
	global_wb scope:SCOPE_SE
	s_wait_dscnt 0x0
	s_barrier_signal -1
	v_dual_fmac_f32 v10, -0.5, v3 :: v_dual_add_f32 v3, v7, v22
	v_dual_sub_f32 v22, v9, v24 :: v_dual_fmac_f32 v7, -0.5, v26
	s_delay_alu instid0(VALU_DEP_2) | instskip(NEXT) | instid1(VALU_DEP_3)
	v_dual_add_f32 v5, v5, v20 :: v_dual_fmamk_f32 v20, v23, 0xbf5db3d7, v10
	v_dual_fmac_f32 v10, 0x3f5db3d7, v23 :: v_dual_add_f32 v3, v3, v21
	s_delay_alu instid0(VALU_DEP_3)
	v_fmamk_f32 v9, v22, 0xbf5db3d7, v7
	v_fmac_f32_e32 v7, 0x3f5db3d7, v22
	s_barrier_wait -1
	global_inv scope:SCOPE_SE
	ds_store_2addr_b32 v19, v5, v20 offset1:135
	ds_store_b32 v19, v10 offset:1080
	s_and_saveexec_b32 s1, s0
	s_cbranch_execz .LBB0_47
; %bb.46:
	v_and_b32_e32 v4, 0xffff, v4
	s_delay_alu instid0(VALU_DEP_1) | instskip(NEXT) | instid1(VALU_DEP_1)
	v_lshlrev_b32_e32 v4, 2, v4
	v_add3_u32 v4, 0, v18, v4
	ds_store_2addr_b32 v4, v3, v9 offset1:135
	ds_store_b32 v4, v7 offset:1080
.LBB0_47:
	s_wait_alu 0xfffe
	s_or_b32 exec_lo, exec_lo, s1
	global_wb scope:SCOPE_SE
	s_wait_dscnt 0x0
	s_barrier_signal -1
	s_barrier_wait -1
	global_inv scope:SCOPE_SE
	ds_load_b32 v10, v14
	ds_load_b32 v18, v14 offset:1620
	ds_load_b32 v19, v14 offset:3240
	s_and_saveexec_b32 s1, s0
	s_cbranch_execz .LBB0_49
; %bb.48:
	ds_load_b32 v9, v14 offset:2592
	ds_load_b32 v3, v15
	ds_load_b32 v7, v14 offset:4212
.LBB0_49:
	s_wait_alu 0xfffe
	s_or_b32 exec_lo, exec_lo, s1
	s_and_saveexec_b32 s1, vcc_lo
	s_cbranch_execz .LBB0_52
; %bb.50:
	v_dual_mov_b32 v5, 0 :: v_dual_lshlrev_b32 v4, 1, v12
	s_delay_alu instid0(VALU_DEP_1) | instskip(NEXT) | instid1(VALU_DEP_1)
	v_lshlrev_b64_e32 v[14:15], 3, v[4:5]
	v_add_co_u32 v14, vcc_lo, s4, v14
	s_wait_alu 0xfffd
	s_delay_alu instid0(VALU_DEP_2)
	v_add_co_ci_u32_e32 v15, vcc_lo, s5, v15, vcc_lo
	v_add_co_u32 v0, vcc_lo, s10, v0
	s_wait_alu 0xfffd
	v_add_co_ci_u32_e32 v1, vcc_lo, s11, v1, vcc_lo
	global_load_b128 v[20:23], v[14:15], off offset:3200
	v_mad_co_u64_u32 v[14:15], null, s8, v12, 0
	s_delay_alu instid0(VALU_DEP_1) | instskip(NEXT) | instid1(VALU_DEP_1)
	v_dual_mov_b32 v4, v15 :: v_dual_add_nc_u32 v29, 0x195, v12
	v_mad_co_u64_u32 v[24:25], null, s8, v29, 0
	s_delay_alu instid0(VALU_DEP_1) | instskip(NEXT) | instid1(VALU_DEP_1)
	v_dual_mov_b32 v15, v25 :: v_dual_add_nc_u32 v30, 0x32a, v12
	v_mad_co_u64_u32 v[26:27], null, s8, v30, 0
	s_delay_alu instid0(VALU_DEP_1) | instskip(SKIP_1) | instid1(VALU_DEP_4)
	v_mov_b32_e32 v25, v27
	v_mad_co_u64_u32 v[27:28], null, s9, v12, v[4:5]
	v_mad_co_u64_u32 v[28:29], null, s9, v29, v[15:16]
	s_wait_loadcnt_dscnt 0x1
	v_mul_f32_e32 v4, v18, v21
	v_mad_co_u64_u32 v[29:30], null, s9, v30, v[25:26]
	s_wait_dscnt 0x0
	s_delay_alu instid0(VALU_DEP_3) | instskip(NEXT) | instid1(VALU_DEP_3)
	v_dual_mov_b32 v25, v28 :: v_dual_mul_f32 v28, v19, v23
	v_fma_f32 v4, v16, v20, -v4
	v_mul_f32_e32 v21, v16, v21
	s_delay_alu instid0(VALU_DEP_3) | instskip(NEXT) | instid1(VALU_DEP_4)
	v_lshlrev_b64_e32 v[24:25], 3, v[24:25]
	v_fma_f32 v28, v17, v22, -v28
	v_mul_f32_e32 v23, v17, v23
	s_delay_alu instid0(VALU_DEP_4) | instskip(NEXT) | instid1(VALU_DEP_2)
	v_fmac_f32_e32 v21, v18, v20
	v_dual_sub_f32 v20, v4, v28 :: v_dual_fmac_f32 v23, v19, v22
	v_mov_b32_e32 v15, v27
	v_dual_mov_b32 v27, v29 :: v_dual_add_f32 v22, v4, v28
	v_add_f32_e32 v4, v11, v4
	s_delay_alu instid0(VALU_DEP_4) | instskip(NEXT) | instid1(VALU_DEP_4)
	v_add_f32_e32 v18, v21, v23
	v_lshlrev_b64_e32 v[14:15], 3, v[14:15]
	s_delay_alu instid0(VALU_DEP_4) | instskip(NEXT) | instid1(VALU_DEP_3)
	v_lshlrev_b64_e32 v[26:27], 3, v[26:27]
	v_fma_f32 v19, -0.5, v18, v10
	v_fma_f32 v18, -0.5, v22, v11
	s_delay_alu instid0(VALU_DEP_4)
	v_add_co_u32 v14, vcc_lo, v0, v14
	s_wait_alu 0xfffd
	v_add_co_ci_u32_e32 v15, vcc_lo, v1, v15, vcc_lo
	v_add_co_u32 v16, vcc_lo, v0, v24
	v_add_f32_e32 v24, v10, v21
	s_wait_alu 0xfffd
	v_add_co_ci_u32_e32 v17, vcc_lo, v1, v25, vcc_lo
	v_dual_sub_f32 v25, v21, v23 :: v_dual_add_f32 v10, v4, v28
	s_delay_alu instid0(VALU_DEP_3) | instskip(SKIP_2) | instid1(VALU_DEP_4)
	v_add_f32_e32 v11, v24, v23
	v_add_co_u32 v22, vcc_lo, v0, v26
	v_fmamk_f32 v21, v20, 0x3f5db3d7, v19
	v_dual_fmac_f32 v19, 0xbf5db3d7, v20 :: v_dual_fmamk_f32 v20, v25, 0xbf5db3d7, v18
	v_fmac_f32_e32 v18, 0x3f5db3d7, v25
	s_wait_alu 0xfffd
	v_add_co_ci_u32_e32 v23, vcc_lo, v1, v27, vcc_lo
	s_clause 0x2
	global_store_b64 v[14:15], v[10:11], off
	global_store_b64 v[16:17], v[18:19], off
	;; [unrolled: 1-line block ×3, first 2 shown]
	s_and_b32 exec_lo, exec_lo, s0
	s_cbranch_execz .LBB0_52
; %bb.51:
	v_add_nc_u32_e32 v4, 0xffffff5e, v12
	v_add_nc_u32_e32 v21, 0x41d, v12
	;; [unrolled: 1-line block ×3, first 2 shown]
	s_delay_alu instid0(VALU_DEP_3) | instskip(NEXT) | instid1(VALU_DEP_3)
	v_cndmask_b32_e64 v4, v4, v13, s0
	v_mad_co_u64_u32 v[17:18], null, s8, v21, 0
	v_add_nc_u32_e32 v19, 0xf3, v12
	s_delay_alu instid0(VALU_DEP_4) | instskip(NEXT) | instid1(VALU_DEP_4)
	v_mad_co_u64_u32 v[10:11], null, s8, v20, 0
	v_lshlrev_b32_e32 v4, 1, v4
	s_delay_alu instid0(VALU_DEP_4) | instskip(NEXT) | instid1(VALU_DEP_2)
	v_mov_b32_e32 v12, v18
	v_lshlrev_b64_e32 v[4:5], 3, v[4:5]
	s_delay_alu instid0(VALU_DEP_1) | instskip(SKIP_1) | instid1(VALU_DEP_2)
	v_add_co_u32 v4, vcc_lo, s4, v4
	s_wait_alu 0xfffd
	v_add_co_ci_u32_e32 v5, vcc_lo, s5, v5, vcc_lo
	global_load_b128 v[13:16], v[4:5], off offset:3200
	v_mad_co_u64_u32 v[4:5], null, s8, v19, 0
	s_delay_alu instid0(VALU_DEP_1) | instskip(SKIP_1) | instid1(VALU_DEP_2)
	v_mad_co_u64_u32 v[18:19], null, s9, v19, v[5:6]
	v_mad_co_u64_u32 v[19:20], null, s9, v20, v[11:12]
	v_mov_b32_e32 v5, v18
	s_delay_alu instid0(VALU_DEP_2) | instskip(NEXT) | instid1(VALU_DEP_2)
	v_mov_b32_e32 v11, v19
	v_lshlrev_b64_e32 v[4:5], 3, v[4:5]
	s_delay_alu instid0(VALU_DEP_2) | instskip(NEXT) | instid1(VALU_DEP_2)
	v_lshlrev_b64_e32 v[10:11], 3, v[10:11]
	v_add_co_u32 v4, vcc_lo, v0, v4
	s_wait_alu 0xfffd
	s_delay_alu instid0(VALU_DEP_3) | instskip(NEXT) | instid1(VALU_DEP_3)
	v_add_co_ci_u32_e32 v5, vcc_lo, v1, v5, vcc_lo
	v_add_co_u32 v10, vcc_lo, v0, v10
	s_wait_alu 0xfffd
	v_add_co_ci_u32_e32 v11, vcc_lo, v1, v11, vcc_lo
	s_wait_loadcnt 0x0
	v_mad_co_u64_u32 v[20:21], null, s9, v21, v[12:13]
	v_dual_mul_f32 v12, v9, v14 :: v_dual_mul_f32 v19, v7, v16
	v_mul_f32_e32 v14, v8, v14
	s_delay_alu instid0(VALU_DEP_2) | instskip(SKIP_1) | instid1(VALU_DEP_3)
	v_fma_f32 v8, v8, v13, -v12
	v_mul_f32_e32 v16, v6, v16
	v_fmac_f32_e32 v14, v9, v13
	v_fma_f32 v6, v6, v15, -v19
	s_delay_alu instid0(VALU_DEP_4) | instskip(NEXT) | instid1(VALU_DEP_2)
	v_dual_mov_b32 v18, v20 :: v_dual_add_f32 v9, v2, v8
	v_dual_fmac_f32 v16, v7, v15 :: v_dual_add_f32 v7, v8, v6
	v_sub_f32_e32 v15, v8, v6
	s_delay_alu instid0(VALU_DEP_3) | instskip(NEXT) | instid1(VALU_DEP_3)
	v_lshlrev_b64_e32 v[17:18], 3, v[17:18]
	v_add_f32_e32 v12, v14, v16
	v_dual_sub_f32 v13, v14, v16 :: v_dual_add_f32 v14, v3, v14
	s_delay_alu instid0(VALU_DEP_2) | instskip(NEXT) | instid1(VALU_DEP_4)
	v_dual_fmac_f32 v2, -0.5, v7 :: v_dual_fmac_f32 v3, -0.5, v12
	v_add_co_u32 v0, vcc_lo, v0, v17
	s_delay_alu instid0(VALU_DEP_3) | instskip(NEXT) | instid1(VALU_DEP_3)
	v_dual_add_f32 v7, v14, v16 :: v_dual_add_f32 v6, v9, v6
	v_fmamk_f32 v8, v13, 0x3f5db3d7, v2
	s_delay_alu instid0(VALU_DEP_4)
	v_fmamk_f32 v9, v15, 0xbf5db3d7, v3
	v_fmac_f32_e32 v3, 0x3f5db3d7, v15
	s_wait_alu 0xfffd
	v_add_co_ci_u32_e32 v1, vcc_lo, v1, v18, vcc_lo
	v_fmac_f32_e32 v2, 0xbf5db3d7, v13
	s_clause 0x2
	global_store_b64 v[4:5], v[6:7], off
	global_store_b64 v[10:11], v[8:9], off
	;; [unrolled: 1-line block ×3, first 2 shown]
.LBB0_52:
	s_nop 0
	s_sendmsg sendmsg(MSG_DEALLOC_VGPRS)
	s_endpgm
	.section	.rodata,"a",@progbits
	.p2align	6, 0x0
	.amdhsa_kernel fft_rtc_fwd_len1215_factors_5_3_3_3_3_3_wgs_243_tpt_243_halfLds_sp_ip_CI_sbrr_dirReg
		.amdhsa_group_segment_fixed_size 0
		.amdhsa_private_segment_fixed_size 0
		.amdhsa_kernarg_size 88
		.amdhsa_user_sgpr_count 2
		.amdhsa_user_sgpr_dispatch_ptr 0
		.amdhsa_user_sgpr_queue_ptr 0
		.amdhsa_user_sgpr_kernarg_segment_ptr 1
		.amdhsa_user_sgpr_dispatch_id 0
		.amdhsa_user_sgpr_private_segment_size 0
		.amdhsa_wavefront_size32 1
		.amdhsa_uses_dynamic_stack 0
		.amdhsa_enable_private_segment 0
		.amdhsa_system_sgpr_workgroup_id_x 1
		.amdhsa_system_sgpr_workgroup_id_y 0
		.amdhsa_system_sgpr_workgroup_id_z 0
		.amdhsa_system_sgpr_workgroup_info 0
		.amdhsa_system_vgpr_workitem_id 0
		.amdhsa_next_free_vgpr 36
		.amdhsa_next_free_sgpr 35
		.amdhsa_reserve_vcc 1
		.amdhsa_float_round_mode_32 0
		.amdhsa_float_round_mode_16_64 0
		.amdhsa_float_denorm_mode_32 3
		.amdhsa_float_denorm_mode_16_64 3
		.amdhsa_fp16_overflow 0
		.amdhsa_workgroup_processor_mode 1
		.amdhsa_memory_ordered 1
		.amdhsa_forward_progress 0
		.amdhsa_round_robin_scheduling 0
		.amdhsa_exception_fp_ieee_invalid_op 0
		.amdhsa_exception_fp_denorm_src 0
		.amdhsa_exception_fp_ieee_div_zero 0
		.amdhsa_exception_fp_ieee_overflow 0
		.amdhsa_exception_fp_ieee_underflow 0
		.amdhsa_exception_fp_ieee_inexact 0
		.amdhsa_exception_int_div_zero 0
	.end_amdhsa_kernel
	.text
.Lfunc_end0:
	.size	fft_rtc_fwd_len1215_factors_5_3_3_3_3_3_wgs_243_tpt_243_halfLds_sp_ip_CI_sbrr_dirReg, .Lfunc_end0-fft_rtc_fwd_len1215_factors_5_3_3_3_3_3_wgs_243_tpt_243_halfLds_sp_ip_CI_sbrr_dirReg
                                        ; -- End function
	.section	.AMDGPU.csdata,"",@progbits
; Kernel info:
; codeLenInByte = 6720
; NumSgprs: 37
; NumVgprs: 36
; ScratchSize: 0
; MemoryBound: 0
; FloatMode: 240
; IeeeMode: 1
; LDSByteSize: 0 bytes/workgroup (compile time only)
; SGPRBlocks: 4
; VGPRBlocks: 4
; NumSGPRsForWavesPerEU: 37
; NumVGPRsForWavesPerEU: 36
; Occupancy: 16
; WaveLimiterHint : 1
; COMPUTE_PGM_RSRC2:SCRATCH_EN: 0
; COMPUTE_PGM_RSRC2:USER_SGPR: 2
; COMPUTE_PGM_RSRC2:TRAP_HANDLER: 0
; COMPUTE_PGM_RSRC2:TGID_X_EN: 1
; COMPUTE_PGM_RSRC2:TGID_Y_EN: 0
; COMPUTE_PGM_RSRC2:TGID_Z_EN: 0
; COMPUTE_PGM_RSRC2:TIDIG_COMP_CNT: 0
	.text
	.p2alignl 7, 3214868480
	.fill 96, 4, 3214868480
	.type	__hip_cuid_fb0704bee8d80cf2,@object ; @__hip_cuid_fb0704bee8d80cf2
	.section	.bss,"aw",@nobits
	.globl	__hip_cuid_fb0704bee8d80cf2
__hip_cuid_fb0704bee8d80cf2:
	.byte	0                               ; 0x0
	.size	__hip_cuid_fb0704bee8d80cf2, 1

	.ident	"AMD clang version 19.0.0git (https://github.com/RadeonOpenCompute/llvm-project roc-6.4.0 25133 c7fe45cf4b819c5991fe208aaa96edf142730f1d)"
	.section	".note.GNU-stack","",@progbits
	.addrsig
	.addrsig_sym __hip_cuid_fb0704bee8d80cf2
	.amdgpu_metadata
---
amdhsa.kernels:
  - .args:
      - .actual_access:  read_only
        .address_space:  global
        .offset:         0
        .size:           8
        .value_kind:     global_buffer
      - .offset:         8
        .size:           8
        .value_kind:     by_value
      - .actual_access:  read_only
        .address_space:  global
        .offset:         16
        .size:           8
        .value_kind:     global_buffer
      - .actual_access:  read_only
        .address_space:  global
        .offset:         24
        .size:           8
        .value_kind:     global_buffer
      - .offset:         32
        .size:           8
        .value_kind:     by_value
      - .actual_access:  read_only
        .address_space:  global
        .offset:         40
        .size:           8
        .value_kind:     global_buffer
      - .actual_access:  read_only
        .address_space:  global
        .offset:         48
        .size:           8
        .value_kind:     global_buffer
      - .offset:         56
        .size:           4
        .value_kind:     by_value
      - .actual_access:  read_only
        .address_space:  global
        .offset:         64
        .size:           8
        .value_kind:     global_buffer
      - .actual_access:  read_only
        .address_space:  global
        .offset:         72
        .size:           8
        .value_kind:     global_buffer
      - .address_space:  global
        .offset:         80
        .size:           8
        .value_kind:     global_buffer
    .group_segment_fixed_size: 0
    .kernarg_segment_align: 8
    .kernarg_segment_size: 88
    .language:       OpenCL C
    .language_version:
      - 2
      - 0
    .max_flat_workgroup_size: 243
    .name:           fft_rtc_fwd_len1215_factors_5_3_3_3_3_3_wgs_243_tpt_243_halfLds_sp_ip_CI_sbrr_dirReg
    .private_segment_fixed_size: 0
    .sgpr_count:     37
    .sgpr_spill_count: 0
    .symbol:         fft_rtc_fwd_len1215_factors_5_3_3_3_3_3_wgs_243_tpt_243_halfLds_sp_ip_CI_sbrr_dirReg.kd
    .uniform_work_group_size: 1
    .uses_dynamic_stack: false
    .vgpr_count:     36
    .vgpr_spill_count: 0
    .wavefront_size: 32
    .workgroup_processor_mode: 1
amdhsa.target:   amdgcn-amd-amdhsa--gfx1201
amdhsa.version:
  - 1
  - 2
...

	.end_amdgpu_metadata
